;; amdgpu-corpus repo=ROCm/rocFFT kind=compiled arch=gfx1201 opt=O3
	.text
	.amdgcn_target "amdgcn-amd-amdhsa--gfx1201"
	.amdhsa_code_object_version 6
	.protected	fft_rtc_back_len104_factors_13_8_wgs_64_tpt_8_halfLds_half_op_CI_CI_unitstride_sbrr_C2R_dirReg ; -- Begin function fft_rtc_back_len104_factors_13_8_wgs_64_tpt_8_halfLds_half_op_CI_CI_unitstride_sbrr_C2R_dirReg
	.globl	fft_rtc_back_len104_factors_13_8_wgs_64_tpt_8_halfLds_half_op_CI_CI_unitstride_sbrr_C2R_dirReg
	.p2align	8
	.type	fft_rtc_back_len104_factors_13_8_wgs_64_tpt_8_halfLds_half_op_CI_CI_unitstride_sbrr_C2R_dirReg,@function
fft_rtc_back_len104_factors_13_8_wgs_64_tpt_8_halfLds_half_op_CI_CI_unitstride_sbrr_C2R_dirReg: ; @fft_rtc_back_len104_factors_13_8_wgs_64_tpt_8_halfLds_half_op_CI_CI_unitstride_sbrr_C2R_dirReg
; %bb.0:
	s_clause 0x2
	s_load_b128 s[8:11], s[0:1], 0x0
	s_load_b128 s[4:7], s[0:1], 0x58
	;; [unrolled: 1-line block ×3, first 2 shown]
	v_lshrrev_b32_e32 v11, 3, v0
	v_mov_b32_e32 v3, 0
	v_mov_b32_e32 v7, 0
	;; [unrolled: 1-line block ×3, first 2 shown]
	s_delay_alu instid0(VALU_DEP_4) | instskip(NEXT) | instid1(VALU_DEP_4)
	v_lshl_or_b32 v9, ttmp9, 3, v11
	v_mov_b32_e32 v10, v3
	s_wait_kmcnt 0x0
	v_cmp_lt_u64_e64 s2, s[10:11], 2
	s_delay_alu instid0(VALU_DEP_1)
	s_and_b32 vcc_lo, exec_lo, s2
	s_cbranch_vccnz .LBB0_8
; %bb.1:
	s_load_b64 s[2:3], s[0:1], 0x10
	v_mov_b32_e32 v7, 0
	v_mov_b32_e32 v8, 0
	s_delay_alu instid0(VALU_DEP_2)
	v_mov_b32_e32 v1, v7
	s_add_nc_u64 s[16:17], s[14:15], 8
	s_add_nc_u64 s[18:19], s[12:13], 8
	s_mov_b64 s[20:21], 1
	v_mov_b32_e32 v2, v8
	s_wait_kmcnt 0x0
	s_add_nc_u64 s[22:23], s[2:3], 8
	s_mov_b32 s3, 0
.LBB0_2:                                ; =>This Inner Loop Header: Depth=1
	s_load_b64 s[24:25], s[22:23], 0x0
                                        ; implicit-def: $vgpr5_vgpr6
	s_mov_b32 s2, exec_lo
	s_wait_kmcnt 0x0
	v_or_b32_e32 v4, s25, v10
	s_delay_alu instid0(VALU_DEP_1)
	v_cmpx_ne_u64_e32 0, v[3:4]
	s_wait_alu 0xfffe
	s_xor_b32 s26, exec_lo, s2
	s_cbranch_execz .LBB0_4
; %bb.3:                                ;   in Loop: Header=BB0_2 Depth=1
	s_cvt_f32_u32 s2, s24
	s_cvt_f32_u32 s27, s25
	s_sub_nc_u64 s[30:31], 0, s[24:25]
	s_wait_alu 0xfffe
	s_delay_alu instid0(SALU_CYCLE_1) | instskip(SKIP_1) | instid1(SALU_CYCLE_2)
	s_fmamk_f32 s2, s27, 0x4f800000, s2
	s_wait_alu 0xfffe
	v_s_rcp_f32 s2, s2
	s_delay_alu instid0(TRANS32_DEP_1) | instskip(SKIP_1) | instid1(SALU_CYCLE_2)
	s_mul_f32 s2, s2, 0x5f7ffffc
	s_wait_alu 0xfffe
	s_mul_f32 s27, s2, 0x2f800000
	s_wait_alu 0xfffe
	s_delay_alu instid0(SALU_CYCLE_2) | instskip(SKIP_1) | instid1(SALU_CYCLE_2)
	s_trunc_f32 s27, s27
	s_wait_alu 0xfffe
	s_fmamk_f32 s2, s27, 0xcf800000, s2
	s_cvt_u32_f32 s29, s27
	s_wait_alu 0xfffe
	s_delay_alu instid0(SALU_CYCLE_1) | instskip(SKIP_1) | instid1(SALU_CYCLE_2)
	s_cvt_u32_f32 s28, s2
	s_wait_alu 0xfffe
	s_mul_u64 s[34:35], s[30:31], s[28:29]
	s_wait_alu 0xfffe
	s_mul_hi_u32 s37, s28, s35
	s_mul_i32 s36, s28, s35
	s_mul_hi_u32 s2, s28, s34
	s_mul_i32 s33, s29, s34
	s_wait_alu 0xfffe
	s_add_nc_u64 s[36:37], s[2:3], s[36:37]
	s_mul_hi_u32 s27, s29, s34
	s_mul_hi_u32 s38, s29, s35
	s_add_co_u32 s2, s36, s33
	s_wait_alu 0xfffe
	s_add_co_ci_u32 s2, s37, s27
	s_mul_i32 s34, s29, s35
	s_add_co_ci_u32 s35, s38, 0
	s_wait_alu 0xfffe
	s_add_nc_u64 s[34:35], s[2:3], s[34:35]
	s_wait_alu 0xfffe
	v_add_co_u32 v4, s2, s28, s34
	s_delay_alu instid0(VALU_DEP_1) | instskip(SKIP_1) | instid1(VALU_DEP_1)
	s_cmp_lg_u32 s2, 0
	s_add_co_ci_u32 s29, s29, s35
	v_readfirstlane_b32 s28, v4
	s_wait_alu 0xfffe
	s_delay_alu instid0(VALU_DEP_1)
	s_mul_u64 s[30:31], s[30:31], s[28:29]
	s_wait_alu 0xfffe
	s_mul_hi_u32 s35, s28, s31
	s_mul_i32 s34, s28, s31
	s_mul_hi_u32 s2, s28, s30
	s_mul_i32 s33, s29, s30
	s_wait_alu 0xfffe
	s_add_nc_u64 s[34:35], s[2:3], s[34:35]
	s_mul_hi_u32 s27, s29, s30
	s_mul_hi_u32 s28, s29, s31
	s_wait_alu 0xfffe
	s_add_co_u32 s2, s34, s33
	s_add_co_ci_u32 s2, s35, s27
	s_mul_i32 s30, s29, s31
	s_add_co_ci_u32 s31, s28, 0
	s_wait_alu 0xfffe
	s_add_nc_u64 s[30:31], s[2:3], s[30:31]
	s_wait_alu 0xfffe
	v_add_co_u32 v6, s2, v4, s30
	s_delay_alu instid0(VALU_DEP_1) | instskip(SKIP_1) | instid1(VALU_DEP_1)
	s_cmp_lg_u32 s2, 0
	s_add_co_ci_u32 s2, s29, s31
	v_mul_hi_u32 v16, v9, v6
	s_wait_alu 0xfffe
	v_mad_co_u64_u32 v[4:5], null, v9, s2, 0
	v_mad_co_u64_u32 v[12:13], null, v10, v6, 0
	;; [unrolled: 1-line block ×3, first 2 shown]
	s_delay_alu instid0(VALU_DEP_3) | instskip(SKIP_1) | instid1(VALU_DEP_4)
	v_add_co_u32 v4, vcc_lo, v16, v4
	s_wait_alu 0xfffd
	v_add_co_ci_u32_e32 v5, vcc_lo, 0, v5, vcc_lo
	s_delay_alu instid0(VALU_DEP_2) | instskip(SKIP_1) | instid1(VALU_DEP_2)
	v_add_co_u32 v4, vcc_lo, v4, v12
	s_wait_alu 0xfffd
	v_add_co_ci_u32_e32 v4, vcc_lo, v5, v13, vcc_lo
	s_wait_alu 0xfffd
	v_add_co_ci_u32_e32 v5, vcc_lo, 0, v15, vcc_lo
	s_delay_alu instid0(VALU_DEP_2) | instskip(SKIP_1) | instid1(VALU_DEP_2)
	v_add_co_u32 v12, vcc_lo, v4, v14
	s_wait_alu 0xfffd
	v_add_co_ci_u32_e32 v6, vcc_lo, 0, v5, vcc_lo
	s_delay_alu instid0(VALU_DEP_2) | instskip(SKIP_1) | instid1(VALU_DEP_3)
	v_mul_lo_u32 v13, s25, v12
	v_mad_co_u64_u32 v[4:5], null, s24, v12, 0
	v_mul_lo_u32 v14, s24, v6
	s_delay_alu instid0(VALU_DEP_2) | instskip(NEXT) | instid1(VALU_DEP_2)
	v_sub_co_u32 v4, vcc_lo, v9, v4
	v_add3_u32 v5, v5, v14, v13
	s_delay_alu instid0(VALU_DEP_1) | instskip(SKIP_1) | instid1(VALU_DEP_1)
	v_sub_nc_u32_e32 v13, v10, v5
	s_wait_alu 0xfffd
	v_subrev_co_ci_u32_e64 v13, s2, s25, v13, vcc_lo
	v_add_co_u32 v14, s2, v12, 2
	s_wait_alu 0xf1ff
	v_add_co_ci_u32_e64 v15, s2, 0, v6, s2
	v_sub_co_u32 v16, s2, v4, s24
	v_sub_co_ci_u32_e32 v5, vcc_lo, v10, v5, vcc_lo
	s_wait_alu 0xf1ff
	v_subrev_co_ci_u32_e64 v13, s2, 0, v13, s2
	s_delay_alu instid0(VALU_DEP_3) | instskip(NEXT) | instid1(VALU_DEP_3)
	v_cmp_le_u32_e32 vcc_lo, s24, v16
	v_cmp_eq_u32_e64 s2, s25, v5
	s_wait_alu 0xfffd
	v_cndmask_b32_e64 v16, 0, -1, vcc_lo
	v_cmp_le_u32_e32 vcc_lo, s25, v13
	s_wait_alu 0xfffd
	v_cndmask_b32_e64 v17, 0, -1, vcc_lo
	v_cmp_le_u32_e32 vcc_lo, s24, v4
	;; [unrolled: 3-line block ×3, first 2 shown]
	s_wait_alu 0xfffd
	v_cndmask_b32_e64 v18, 0, -1, vcc_lo
	v_cmp_eq_u32_e32 vcc_lo, s25, v13
	s_wait_alu 0xf1ff
	s_delay_alu instid0(VALU_DEP_2)
	v_cndmask_b32_e64 v4, v18, v4, s2
	s_wait_alu 0xfffd
	v_cndmask_b32_e32 v13, v17, v16, vcc_lo
	v_add_co_u32 v16, vcc_lo, v12, 1
	s_wait_alu 0xfffd
	v_add_co_ci_u32_e32 v17, vcc_lo, 0, v6, vcc_lo
	s_delay_alu instid0(VALU_DEP_3) | instskip(SKIP_1) | instid1(VALU_DEP_2)
	v_cmp_ne_u32_e32 vcc_lo, 0, v13
	s_wait_alu 0xfffd
	v_cndmask_b32_e32 v5, v17, v15, vcc_lo
	v_cndmask_b32_e32 v13, v16, v14, vcc_lo
	v_cmp_ne_u32_e32 vcc_lo, 0, v4
	s_wait_alu 0xfffd
	s_delay_alu instid0(VALU_DEP_3) | instskip(NEXT) | instid1(VALU_DEP_3)
	v_cndmask_b32_e32 v6, v6, v5, vcc_lo
	v_cndmask_b32_e32 v5, v12, v13, vcc_lo
.LBB0_4:                                ;   in Loop: Header=BB0_2 Depth=1
	s_wait_alu 0xfffe
	s_and_not1_saveexec_b32 s2, s26
	s_cbranch_execz .LBB0_6
; %bb.5:                                ;   in Loop: Header=BB0_2 Depth=1
	v_cvt_f32_u32_e32 v4, s24
	s_sub_co_i32 s26, 0, s24
	s_delay_alu instid0(VALU_DEP_1) | instskip(NEXT) | instid1(TRANS32_DEP_1)
	v_rcp_iflag_f32_e32 v4, v4
	v_mul_f32_e32 v4, 0x4f7ffffe, v4
	s_delay_alu instid0(VALU_DEP_1) | instskip(SKIP_1) | instid1(VALU_DEP_1)
	v_cvt_u32_f32_e32 v4, v4
	s_wait_alu 0xfffe
	v_mul_lo_u32 v5, s26, v4
	s_delay_alu instid0(VALU_DEP_1) | instskip(NEXT) | instid1(VALU_DEP_1)
	v_mul_hi_u32 v5, v4, v5
	v_add_nc_u32_e32 v4, v4, v5
	s_delay_alu instid0(VALU_DEP_1) | instskip(NEXT) | instid1(VALU_DEP_1)
	v_mul_hi_u32 v4, v9, v4
	v_mul_lo_u32 v5, v4, s24
	v_add_nc_u32_e32 v6, 1, v4
	s_delay_alu instid0(VALU_DEP_2) | instskip(NEXT) | instid1(VALU_DEP_1)
	v_sub_nc_u32_e32 v5, v9, v5
	v_subrev_nc_u32_e32 v12, s24, v5
	v_cmp_le_u32_e32 vcc_lo, s24, v5
	s_wait_alu 0xfffd
	s_delay_alu instid0(VALU_DEP_2) | instskip(NEXT) | instid1(VALU_DEP_1)
	v_dual_cndmask_b32 v5, v5, v12 :: v_dual_cndmask_b32 v4, v4, v6
	v_cmp_le_u32_e32 vcc_lo, s24, v5
	s_delay_alu instid0(VALU_DEP_2) | instskip(SKIP_1) | instid1(VALU_DEP_1)
	v_add_nc_u32_e32 v6, 1, v4
	s_wait_alu 0xfffd
	v_dual_cndmask_b32 v5, v4, v6 :: v_dual_mov_b32 v6, v3
.LBB0_6:                                ;   in Loop: Header=BB0_2 Depth=1
	s_wait_alu 0xfffe
	s_or_b32 exec_lo, exec_lo, s2
	s_delay_alu instid0(VALU_DEP_1) | instskip(NEXT) | instid1(VALU_DEP_2)
	v_mul_lo_u32 v4, v6, s24
	v_mul_lo_u32 v14, v5, s25
	s_load_b64 s[26:27], s[18:19], 0x0
	v_mad_co_u64_u32 v[12:13], null, v5, s24, 0
	s_load_b64 s[24:25], s[16:17], 0x0
	s_add_nc_u64 s[20:21], s[20:21], 1
	s_add_nc_u64 s[16:17], s[16:17], 8
	s_wait_alu 0xfffe
	v_cmp_ge_u64_e64 s2, s[20:21], s[10:11]
	s_add_nc_u64 s[18:19], s[18:19], 8
	s_add_nc_u64 s[22:23], s[22:23], 8
	v_add3_u32 v4, v13, v14, v4
	v_sub_co_u32 v9, vcc_lo, v9, v12
	s_wait_alu 0xfffd
	s_delay_alu instid0(VALU_DEP_2) | instskip(SKIP_2) | instid1(VALU_DEP_1)
	v_sub_co_ci_u32_e32 v4, vcc_lo, v10, v4, vcc_lo
	s_and_b32 vcc_lo, exec_lo, s2
	s_wait_kmcnt 0x0
	v_mul_lo_u32 v10, s26, v4
	v_mul_lo_u32 v12, s27, v9
	v_mad_co_u64_u32 v[7:8], null, s26, v9, v[7:8]
	v_mul_lo_u32 v4, s24, v4
	v_mul_lo_u32 v13, s25, v9
	v_mad_co_u64_u32 v[1:2], null, s24, v9, v[1:2]
	s_delay_alu instid0(VALU_DEP_4) | instskip(NEXT) | instid1(VALU_DEP_2)
	v_add3_u32 v8, v12, v8, v10
	v_add3_u32 v2, v13, v2, v4
	s_wait_alu 0xfffe
	s_cbranch_vccnz .LBB0_9
; %bb.7:                                ;   in Loop: Header=BB0_2 Depth=1
	v_dual_mov_b32 v10, v6 :: v_dual_mov_b32 v9, v5
	s_branch .LBB0_2
.LBB0_8:
	v_dual_mov_b32 v1, v7 :: v_dual_mov_b32 v2, v8
	v_dual_mov_b32 v5, v9 :: v_dual_mov_b32 v6, v10
.LBB0_9:
	s_load_b64 s[0:1], s[0:1], 0x28
	v_and_b32_e32 v3, 7, v0
	s_lshl_b64 s[10:11], s[10:11], 3
	s_wait_alu 0xfffe
	s_add_nc_u64 s[2:3], s[14:15], s[10:11]
	s_wait_kmcnt 0x0
	v_cmp_gt_u64_e32 vcc_lo, s[0:1], v[5:6]
	v_cmp_le_u64_e64 s0, s[0:1], v[5:6]
	s_delay_alu instid0(VALU_DEP_1)
	s_and_saveexec_b32 s1, s0
	s_wait_alu 0xfffe
	s_xor_b32 s0, exec_lo, s1
; %bb.10:
	v_and_b32_e32 v3, 7, v0
                                        ; implicit-def: $vgpr7_vgpr8
; %bb.11:
	s_wait_alu 0xfffe
	s_or_saveexec_b32 s1, s0
	s_load_b64 s[2:3], s[2:3], 0x0
	v_mul_u32_u24_e32 v0, 0x69, v11
	s_delay_alu instid0(VALU_DEP_1)
	v_lshlrev_b32_e32 v9, 2, v0
	s_xor_b32 exec_lo, exec_lo, s1
	s_cbranch_execz .LBB0_15
; %bb.12:
	s_add_nc_u64 s[10:11], s[12:13], s[10:11]
	v_lshlrev_b64_e32 v[7:8], 2, v[7:8]
	s_load_b64 s[10:11], s[10:11], 0x0
	s_wait_kmcnt 0x0
	v_mul_lo_u32 v4, s11, v5
	v_mul_lo_u32 v12, s10, v6
	v_mad_co_u64_u32 v[10:11], null, s10, v5, 0
	s_delay_alu instid0(VALU_DEP_1) | instskip(SKIP_1) | instid1(VALU_DEP_2)
	v_add3_u32 v11, v11, v12, v4
	v_lshlrev_b32_e32 v12, 2, v3
	v_lshlrev_b64_e32 v[10:11], 2, v[10:11]
	s_delay_alu instid0(VALU_DEP_1) | instskip(SKIP_1) | instid1(VALU_DEP_2)
	v_add_co_u32 v4, s0, s4, v10
	s_wait_alu 0xf1ff
	v_add_co_ci_u32_e64 v10, s0, s5, v11, s0
	s_mov_b32 s4, exec_lo
	s_delay_alu instid0(VALU_DEP_2) | instskip(SKIP_1) | instid1(VALU_DEP_2)
	v_add_co_u32 v7, s0, v4, v7
	s_wait_alu 0xf1ff
	v_add_co_ci_u32_e64 v8, s0, v10, v8, s0
	v_add3_u32 v4, 0, v9, v12
	s_delay_alu instid0(VALU_DEP_3) | instskip(SKIP_1) | instid1(VALU_DEP_3)
	v_add_co_u32 v10, s0, v7, v12
	s_wait_alu 0xf1ff
	v_add_co_ci_u32_e64 v11, s0, 0, v8, s0
	s_clause 0xc
	global_load_b32 v13, v[10:11], off
	global_load_b32 v14, v[10:11], off offset:32
	global_load_b32 v15, v[10:11], off offset:64
	;; [unrolled: 1-line block ×12, first 2 shown]
	s_wait_loadcnt 0xb
	ds_store_2addr_b32 v4, v13, v14 offset1:8
	s_wait_loadcnt 0x9
	ds_store_2addr_b32 v4, v15, v16 offset0:16 offset1:24
	s_wait_loadcnt 0x7
	ds_store_2addr_b32 v4, v17, v18 offset0:32 offset1:40
	;; [unrolled: 2-line block ×5, first 2 shown]
	s_wait_loadcnt 0x0
	ds_store_b32 v4, v10 offset:384
	v_cmpx_eq_u32_e32 7, v3
	s_cbranch_execz .LBB0_14
; %bb.13:
	global_load_b32 v7, v[7:8], off offset:416
	v_mov_b32_e32 v3, 7
	s_wait_loadcnt 0x0
	ds_store_b32 v4, v7 offset:388
.LBB0_14:
	s_wait_alu 0xfffe
	s_or_b32 exec_lo, exec_lo, s4
.LBB0_15:
	s_delay_alu instid0(SALU_CYCLE_1)
	s_or_b32 exec_lo, exec_lo, s1
	v_lshl_add_u32 v0, v0, 2, 0
	v_lshlrev_b32_e32 v10, 2, v3
	global_wb scope:SCOPE_SE
	s_wait_dscnt 0x0
	s_wait_kmcnt 0x0
	s_barrier_signal -1
	s_barrier_wait -1
	global_inv scope:SCOPE_SE
	v_add_nc_u32_e32 v12, v0, v10
	v_sub_nc_u32_e32 v11, v0, v10
	s_mov_b32 s1, exec_lo
                                        ; implicit-def: $vgpr7_vgpr8
	ds_load_u16 v15, v12
	ds_load_u16 v16, v11 offset:416
	s_wait_dscnt 0x0
	v_add_f16_e32 v14, v16, v15
	v_sub_f16_e32 v13, v15, v16
	v_cmpx_ne_u32_e32 0, v3
	s_wait_alu 0xfffe
	s_xor_b32 s1, exec_lo, s1
	s_cbranch_execz .LBB0_17
; %bb.16:
	v_mov_b32_e32 v4, 0
	v_add_f16_e32 v14, v16, v15
	v_sub_f16_e32 v15, v15, v16
	s_delay_alu instid0(VALU_DEP_3) | instskip(NEXT) | instid1(VALU_DEP_1)
	v_lshlrev_b64_e32 v[7:8], 2, v[3:4]
	v_add_co_u32 v7, s0, s8, v7
	s_wait_alu 0xf1ff
	s_delay_alu instid0(VALU_DEP_2)
	v_add_co_ci_u32_e64 v8, s0, s9, v8, s0
	global_load_b32 v7, v[7:8], off offset:364
	ds_load_u16 v8, v11 offset:418
	ds_load_u16 v13, v12 offset:2
	s_wait_dscnt 0x0
	v_add_f16_e32 v16, v8, v13
	v_sub_f16_e32 v8, v13, v8
	s_wait_loadcnt 0x0
	v_lshrrev_b32_e32 v17, 16, v7
	s_delay_alu instid0(VALU_DEP_1) | instskip(NEXT) | instid1(VALU_DEP_3)
	v_fma_f16 v18, -v15, v17, v14
	v_fma_f16 v19, v16, v17, -v8
	v_fma_f16 v13, v16, v17, v8
	v_fma_f16 v14, v15, v17, v14
	s_delay_alu instid0(VALU_DEP_4) | instskip(NEXT) | instid1(VALU_DEP_4)
	v_fmac_f16_e32 v18, v7, v16
	v_fmac_f16_e32 v19, v15, v7
	s_delay_alu instid0(VALU_DEP_4) | instskip(NEXT) | instid1(VALU_DEP_4)
	v_fmac_f16_e32 v13, v15, v7
	v_fma_f16 v14, -v7, v16, v14
	v_dual_mov_b32 v8, v4 :: v_dual_mov_b32 v7, v3
	s_delay_alu instid0(VALU_DEP_4)
	v_pack_b32_f16 v15, v18, v19
	ds_store_b32 v11, v15 offset:416
.LBB0_17:
	s_wait_alu 0xfffe
	s_and_not1_saveexec_b32 s0, s1
	s_cbranch_execz .LBB0_19
; %bb.18:
	ds_load_b32 v4, v0 offset:208
	v_mov_b32_e32 v7, 0
	v_mov_b32_e32 v8, 0
	s_wait_dscnt 0x0
	v_pk_mul_f16 v4, 0xc0004000, v4
	ds_store_b32 v0, v4 offset:208
.LBB0_19:
	s_wait_alu 0xfffe
	s_or_b32 exec_lo, exec_lo, s0
	v_lshlrev_b64_e32 v[7:8], 2, v[7:8]
	s_add_nc_u64 s[0:1], s[8:9], 0x16c
	v_perm_b32 v13, v13, v14, 0x5040100
	s_wait_alu 0xfffe
	s_delay_alu instid0(VALU_DEP_2)
	v_add_co_u32 v7, s0, s0, v7
	s_wait_alu 0xf1ff
	v_add_co_ci_u32_e64 v8, s0, s1, v8, s0
	s_mov_b32 s1, exec_lo
	s_clause 0x4
	global_load_b32 v4, v[7:8], off offset:32
	global_load_b32 v15, v[7:8], off offset:64
	global_load_b32 v16, v[7:8], off offset:96
	global_load_b32 v17, v[7:8], off offset:128
	global_load_b32 v18, v[7:8], off offset:160
	ds_store_b32 v12, v13
	ds_load_b32 v13, v12 offset:32
	ds_load_b32 v14, v11 offset:384
	s_wait_dscnt 0x1
	v_lshrrev_b32_e32 v19, 16, v13
	s_wait_dscnt 0x0
	v_lshrrev_b32_e32 v20, 16, v14
	v_add_f16_e32 v21, v13, v14
	v_sub_f16_e32 v13, v13, v14
	s_delay_alu instid0(VALU_DEP_3) | instskip(SKIP_3) | instid1(VALU_DEP_1)
	v_add_f16_e32 v14, v20, v19
	v_sub_f16_e32 v19, v19, v20
	s_wait_loadcnt 0x4
	v_lshrrev_b32_e32 v22, 16, v4
	v_fma_f16 v20, v13, v22, v21
	s_delay_alu instid0(VALU_DEP_3) | instskip(SKIP_2) | instid1(VALU_DEP_4)
	v_fma_f16 v23, v14, v22, v19
	v_fma_f16 v21, -v13, v22, v21
	v_fma_f16 v19, v14, v22, -v19
	v_fma_f16 v20, -v4, v14, v20
	s_delay_alu instid0(VALU_DEP_4) | instskip(NEXT) | instid1(VALU_DEP_4)
	v_fmac_f16_e32 v23, v13, v4
	v_fmac_f16_e32 v21, v4, v14
	s_delay_alu instid0(VALU_DEP_4) | instskip(NEXT) | instid1(VALU_DEP_3)
	v_fmac_f16_e32 v19, v13, v4
	v_pack_b32_f16 v4, v20, v23
	s_wait_loadcnt 0x3
	v_lshrrev_b32_e32 v20, 16, v15
	s_delay_alu instid0(VALU_DEP_3)
	v_pack_b32_f16 v13, v21, v19
	ds_store_b32 v12, v4 offset:32
	ds_store_b32 v11, v13 offset:384
	ds_load_b32 v4, v12 offset:64
	ds_load_b32 v13, v11 offset:352
	s_wait_dscnt 0x1
	v_lshrrev_b32_e32 v14, 16, v4
	s_wait_dscnt 0x0
	v_lshrrev_b32_e32 v19, 16, v13
	v_add_f16_e32 v21, v4, v13
	v_sub_f16_e32 v4, v4, v13
	s_delay_alu instid0(VALU_DEP_3) | instskip(SKIP_1) | instid1(VALU_DEP_3)
	v_add_f16_e32 v13, v19, v14
	v_sub_f16_e32 v14, v14, v19
	v_fma_f16 v19, v4, v20, v21
	v_fma_f16 v21, -v4, v20, v21
	s_delay_alu instid0(VALU_DEP_3) | instskip(SKIP_1) | instid1(VALU_DEP_4)
	v_fma_f16 v22, v13, v20, v14
	v_fma_f16 v14, v13, v20, -v14
	v_fma_f16 v19, -v15, v13, v19
	s_delay_alu instid0(VALU_DEP_4) | instskip(NEXT) | instid1(VALU_DEP_4)
	v_fmac_f16_e32 v21, v15, v13
	v_fmac_f16_e32 v22, v4, v15
	s_delay_alu instid0(VALU_DEP_4) | instskip(NEXT) | instid1(VALU_DEP_2)
	v_fmac_f16_e32 v14, v4, v15
	v_pack_b32_f16 v4, v19, v22
	s_delay_alu instid0(VALU_DEP_2)
	v_pack_b32_f16 v13, v21, v14
	ds_store_b32 v12, v4 offset:64
	ds_store_b32 v11, v13 offset:352
	ds_load_b32 v4, v12 offset:96
	ds_load_b32 v13, v11 offset:320
	s_wait_loadcnt 0x2
	v_lshrrev_b32_e32 v19, 16, v16
	s_wait_dscnt 0x1
	v_lshrrev_b32_e32 v14, 16, v4
	s_wait_dscnt 0x0
	v_lshrrev_b32_e32 v15, 16, v13
	v_add_f16_e32 v20, v4, v13
	v_sub_f16_e32 v4, v4, v13
	s_delay_alu instid0(VALU_DEP_3) | instskip(SKIP_1) | instid1(VALU_DEP_3)
	v_add_f16_e32 v13, v15, v14
	v_sub_f16_e32 v14, v14, v15
	v_fma_f16 v15, v4, v19, v20
	v_fma_f16 v20, -v4, v19, v20
	s_delay_alu instid0(VALU_DEP_3) | instskip(SKIP_1) | instid1(VALU_DEP_4)
	v_fma_f16 v21, v13, v19, v14
	v_fma_f16 v14, v13, v19, -v14
	v_fma_f16 v15, -v16, v13, v15
	s_delay_alu instid0(VALU_DEP_4) | instskip(NEXT) | instid1(VALU_DEP_4)
	v_fmac_f16_e32 v20, v16, v13
	v_fmac_f16_e32 v21, v4, v16
	s_delay_alu instid0(VALU_DEP_4) | instskip(SKIP_2) | instid1(VALU_DEP_3)
	v_fmac_f16_e32 v14, v4, v16
	s_wait_loadcnt 0x1
	v_lshrrev_b32_e32 v16, 16, v17
	v_pack_b32_f16 v4, v15, v21
	s_delay_alu instid0(VALU_DEP_3)
	v_pack_b32_f16 v13, v20, v14
	ds_store_b32 v12, v4 offset:96
	ds_store_b32 v11, v13 offset:320
	ds_load_b32 v4, v12 offset:128
	ds_load_b32 v13, v11 offset:288
	s_wait_dscnt 0x1
	v_lshrrev_b32_e32 v14, 16, v4
	s_wait_dscnt 0x0
	v_lshrrev_b32_e32 v15, 16, v13
	v_add_f16_e32 v19, v4, v13
	v_sub_f16_e32 v4, v4, v13
	s_delay_alu instid0(VALU_DEP_3) | instskip(SKIP_1) | instid1(VALU_DEP_3)
	v_add_f16_e32 v13, v15, v14
	v_sub_f16_e32 v14, v14, v15
	v_fma_f16 v15, v4, v16, v19
	v_fma_f16 v19, -v4, v16, v19
	s_delay_alu instid0(VALU_DEP_3) | instskip(SKIP_1) | instid1(VALU_DEP_4)
	v_fma_f16 v20, v13, v16, v14
	v_fma_f16 v14, v13, v16, -v14
	v_fma_f16 v15, -v17, v13, v15
	s_delay_alu instid0(VALU_DEP_4) | instskip(SKIP_4) | instid1(VALU_DEP_2)
	v_fmac_f16_e32 v19, v17, v13
	s_wait_loadcnt 0x0
	v_lshrrev_b32_e32 v16, 16, v18
	v_fmac_f16_e32 v20, v4, v17
	v_fmac_f16_e32 v14, v4, v17
	v_pack_b32_f16 v4, v15, v20
	s_delay_alu instid0(VALU_DEP_2)
	v_pack_b32_f16 v13, v19, v14
	ds_store_b32 v12, v4 offset:128
	ds_store_b32 v11, v13 offset:288
	ds_load_b32 v4, v12 offset:160
	ds_load_b32 v13, v11 offset:256
	s_wait_dscnt 0x1
	v_lshrrev_b32_e32 v14, 16, v4
	s_wait_dscnt 0x0
	v_lshrrev_b32_e32 v15, 16, v13
	v_add_f16_e32 v17, v4, v13
	v_sub_f16_e32 v4, v4, v13
	s_delay_alu instid0(VALU_DEP_3) | instskip(SKIP_1) | instid1(VALU_DEP_3)
	v_add_f16_e32 v13, v15, v14
	v_sub_f16_e32 v14, v14, v15
	v_fma_f16 v15, v4, v16, v17
	v_fma_f16 v17, -v4, v16, v17
	s_delay_alu instid0(VALU_DEP_3) | instskip(SKIP_1) | instid1(VALU_DEP_4)
	v_fma_f16 v19, v13, v16, v14
	v_fma_f16 v14, v13, v16, -v14
	v_fma_f16 v15, -v18, v13, v15
	s_delay_alu instid0(VALU_DEP_4) | instskip(NEXT) | instid1(VALU_DEP_4)
	v_fmac_f16_e32 v17, v18, v13
	v_fmac_f16_e32 v19, v4, v18
	s_delay_alu instid0(VALU_DEP_4) | instskip(SKIP_1) | instid1(VALU_DEP_3)
	v_fmac_f16_e32 v14, v4, v18
	v_or_b32_e32 v4, 48, v3
	v_pack_b32_f16 v13, v15, v19
	s_delay_alu instid0(VALU_DEP_3)
	v_pack_b32_f16 v14, v17, v14
	ds_store_b32 v12, v13 offset:160
	ds_store_b32 v11, v14 offset:256
	v_cmpx_gt_u32_e32 52, v4
	s_cbranch_execz .LBB0_21
; %bb.20:
	global_load_b32 v4, v[7:8], off offset:192
	ds_load_b32 v7, v12 offset:192
	ds_load_b32 v8, v11 offset:224
	s_wait_dscnt 0x1
	v_lshrrev_b32_e32 v13, 16, v7
	s_wait_dscnt 0x0
	v_lshrrev_b32_e32 v14, 16, v8
	v_add_f16_e32 v15, v7, v8
	v_sub_f16_e32 v7, v7, v8
	s_delay_alu instid0(VALU_DEP_3) | instskip(SKIP_3) | instid1(VALU_DEP_1)
	v_add_f16_e32 v8, v14, v13
	v_sub_f16_e32 v13, v13, v14
	s_wait_loadcnt 0x0
	v_lshrrev_b32_e32 v16, 16, v4
	v_fma_f16 v14, v7, v16, v15
	s_delay_alu instid0(VALU_DEP_3) | instskip(SKIP_2) | instid1(VALU_DEP_4)
	v_fma_f16 v17, v8, v16, v13
	v_fma_f16 v15, -v7, v16, v15
	v_fma_f16 v13, v8, v16, -v13
	v_fma_f16 v14, -v4, v8, v14
	s_delay_alu instid0(VALU_DEP_4) | instskip(NEXT) | instid1(VALU_DEP_4)
	v_fmac_f16_e32 v17, v7, v4
	v_fmac_f16_e32 v15, v4, v8
	s_delay_alu instid0(VALU_DEP_4) | instskip(NEXT) | instid1(VALU_DEP_3)
	v_fmac_f16_e32 v13, v7, v4
	v_pack_b32_f16 v4, v14, v17
	s_delay_alu instid0(VALU_DEP_2)
	v_pack_b32_f16 v7, v15, v13
	ds_store_b32 v12, v4 offset:192
	ds_store_b32 v11, v7 offset:224
.LBB0_21:
	s_wait_alu 0xfffe
	s_or_b32 exec_lo, exec_lo, s1
	v_add3_u32 v4, 0, v10, v9
	global_wb scope:SCOPE_SE
	s_wait_dscnt 0x0
	s_barrier_signal -1
	s_barrier_wait -1
	global_inv scope:SCOPE_SE
	global_wb scope:SCOPE_SE
	s_barrier_signal -1
	s_barrier_wait -1
	global_inv scope:SCOPE_SE
	ds_load_b32 v11, v12
	ds_load_2addr_b32 v[7:8], v4 offset0:8 offset1:16
	ds_load_2addr_b32 v[21:22], v4 offset0:88 offset1:96
	;; [unrolled: 1-line block ×6, first 2 shown]
	v_mad_u32_u24 v13, v3, 48, v4
	global_wb scope:SCOPE_SE
	s_wait_dscnt 0x0
	s_barrier_signal -1
	s_barrier_wait -1
	global_inv scope:SCOPE_SE
	v_lshrrev_b32_e32 v10, 16, v11
	v_pk_add_f16 v14, v11, v7
	v_pk_add_f16 v17, v7, v22 neg_lo:[0,1] neg_hi:[0,1]
	v_pk_add_f16 v9, v22, v7
	v_pk_add_f16 v31, v21, v8
	v_pk_add_f16 v20, v8, v21 neg_lo:[0,1] neg_hi:[0,1]
	v_pk_add_f16 v7, v14, v8
	v_pk_mul_f16 v8, 0xb770, v17 op_sel_hi:[0,1]
	v_lshrrev_b32_e32 v16, 16, v17
	v_lshrrev_b32_e32 v18, 16, v9
	v_pk_mul_f16 v19, 0xba95, v20 op_sel_hi:[0,1]
	v_pk_add_f16 v7, v7, v23
	v_pk_fma_f16 v14, 0x3b15, v9, v8 op_sel:[0,0,1] op_sel_hi:[0,1,0]
	v_pk_fma_f16 v15, 0x3b15, v9, v8 op_sel:[0,0,1] op_sel_hi:[0,1,0] neg_lo:[0,0,1] neg_hi:[0,0,1]
	v_mul_f16_e32 v36, 0xbb7b, v16
	v_mul_f16_e32 v37, 0xb5ac, v18
	v_pk_add_f16 v7, v7, v24
	v_mul_f16_e32 v38, 0xb94e, v16
	v_mul_f16_e32 v39, 0xb9fd, v18
	v_lshrrev_b32_e32 v32, 16, v20
	v_mul_f16_e32 v8, 0xba95, v16
	v_pk_add_f16 v7, v7, v25
	v_mul_f16_e32 v33, 0x388b, v18
	v_mul_f16_e32 v34, 0xbbf1, v16
	v_mul_f16_e32 v35, 0x2fb7, v18
	v_pk_fma_f16 v16, 0x388b, v31, v19 op_sel:[0,0,1] op_sel_hi:[0,1,0]
	v_pk_add_f16 v7, v7, v26
	v_pk_fma_f16 v18, 0x388b, v31, v19 op_sel:[0,0,1] op_sel_hi:[0,1,0] neg_lo:[0,0,1] neg_hi:[0,0,1]
	v_bfi_b32 v19, 0xffff, v14, v15
	v_fmamk_f16 v44, v9, 0xb5ac, v36
	v_fmamk_f16 v45, v17, 0x3b7b, v37
	v_pk_add_f16 v7, v7, v27
	v_fma_f16 v36, v9, 0xb5ac, -v36
	v_fmac_f16_e32 v37, 0xbb7b, v17
	v_fmamk_f16 v46, v9, 0xb9fd, v38
	v_fmamk_f16 v47, v17, 0x394e, v39
	v_pk_add_f16 v7, v7, v28
	v_fmamk_f16 v40, v9, 0x388b, v8
	v_fmamk_f16 v41, v17, 0x3a95, v33
	v_fmac_f16_e32 v33, 0xba95, v17
	v_fmamk_f16 v43, v17, 0x3bf1, v35
	v_pk_add_f16 v7, v7, v29
	v_fmac_f16_e32 v35, 0xbbf1, v17
	v_pk_add_f16 v48, v11, v19
	v_fmac_f16_e32 v39, 0xb94e, v17
	v_fma_f16 v8, v9, 0x388b, -v8
	v_pk_add_f16 v7, v7, v30
	v_fmamk_f16 v42, v9, 0x2fb7, v34
	v_add_f16_e32 v40, v11, v40
	v_add_f16_e32 v41, v10, v41
	;; [unrolled: 1-line block ×3, first 2 shown]
	v_pk_add_f16 v7, v7, v21
	v_add_f16_e32 v21, v11, v36
	v_add_f16_e32 v36, v10, v37
	;; [unrolled: 1-line block ×4, first 2 shown]
	v_pk_add_f16 v19, v7, v22
	v_fma_f16 v7, v9, 0xb9fd, -v38
	v_mul_f16_e32 v22, 0xbb7b, v32
	v_lshrrev_b32_e32 v38, 16, v31
	v_bfi_b32 v47, 0xffff, v16, v18
	v_add_f16_e32 v43, v10, v43
	v_add_f16_e32 v35, v10, v35
	;; [unrolled: 1-line block ×3, first 2 shown]
	v_fmamk_f16 v49, v31, 0xb5ac, v22
	v_mul_f16_e32 v50, 0xb5ac, v38
	v_add_f16_e32 v10, v10, v39
	v_pk_add_f16 v39, v47, v48
	v_mul_f16_e32 v47, 0xb3a8, v32
	v_add_f16_e32 v8, v11, v8
	v_add_f16_e32 v42, v11, v42
	v_add_f16_e32 v40, v49, v40
	v_fmamk_f16 v48, v20, 0x3b7b, v50
	v_fma_f16 v22, v31, 0xb5ac, -v22
	v_fmac_f16_e32 v50, 0xbb7b, v20
	v_fmamk_f16 v49, v31, 0xbbc4, v47
	v_mul_f16_e32 v51, 0xbbc4, v38
	v_fma_f16 v34, v9, 0x2fb7, -v34
	v_add_f16_e32 v41, v48, v41
	v_add_f16_e32 v8, v22, v8
	;; [unrolled: 1-line block ×4, first 2 shown]
	v_fmamk_f16 v42, v20, 0x33a8, v51
	v_mul_f16_e32 v48, 0x394e, v32
	v_mul_f16_e32 v49, 0xb9fd, v38
	v_add_f16_e32 v34, v11, v34
	v_add_f16_e32 v44, v11, v44
	v_fma_f16 v47, v31, 0xbbc4, -v47
	v_add_f16_e32 v42, v42, v43
	v_fmamk_f16 v43, v31, 0xb9fd, v48
	v_fmamk_f16 v50, v20, 0xb94e, v49
	v_mul_f16_e32 v32, 0x3bf1, v32
	v_add_f16_e32 v34, v47, v34
	v_fma_f16 v47, v31, 0xb9fd, -v48
	v_add_f16_e32 v43, v43, v44
	v_add_f16_e32 v44, v50, v45
	v_mul_f16_e32 v38, 0x2fb7, v38
	v_pk_add_f16 v45, v23, v30 neg_lo:[0,1] neg_hi:[0,1]
	v_add_f16_e32 v21, v47, v21
	v_fmac_f16_e32 v49, 0x394e, v20
	v_fmamk_f16 v47, v31, 0x2fb7, v32
	v_fmamk_f16 v48, v20, 0xbbf1, v38
	v_pk_add_f16 v30, v30, v23
	v_pk_mul_f16 v23, 0xbbf1, v45 op_sel_hi:[0,1]
	v_fmac_f16_e32 v51, 0xb3a8, v20
	v_add_f16_e32 v36, v49, v36
	v_add_f16_e32 v37, v47, v37
	v_lshrrev_b32_e32 v47, 16, v45
	v_add_f16_e32 v46, v48, v46
	v_pk_fma_f16 v48, 0x2fb7, v30, v23 op_sel:[0,0,1] op_sel_hi:[0,1,0]
	v_pk_fma_f16 v49, 0x2fb7, v30, v23 op_sel:[0,0,1] op_sel_hi:[0,1,0] neg_lo:[0,0,1] neg_hi:[0,0,1]
	v_add_f16_e32 v7, v11, v7
	v_add_f16_e32 v35, v51, v35
	v_fma_f16 v23, v31, 0x2fb7, -v32
	v_mul_f16_e32 v32, 0xb3a8, v47
	v_lshrrev_b32_e32 v50, 16, v30
	v_fmac_f16_e32 v38, 0x3bf1, v20
	v_bfi_b32 v51, 0xffff, v48, v49
	v_add_f16_e32 v7, v23, v7
	v_fmamk_f16 v23, v30, 0xbbc4, v32
	v_mul_f16_e32 v52, 0xbbc4, v50
	v_add_f16_e32 v10, v38, v10
	v_pk_add_f16 v38, v51, v39
	v_mul_f16_e32 v39, 0x3b7b, v47
	v_add_f16_e32 v23, v23, v40
	v_fmamk_f16 v40, v45, 0x33a8, v52
	v_fma_f16 v32, v30, 0xbbc4, -v32
	v_mul_f16_e32 v53, 0xb5ac, v50
	v_fmamk_f16 v51, v30, 0xb5ac, v39
	v_fmac_f16_e32 v52, 0xb3a8, v45
	v_add_f16_e32 v40, v40, v41
	v_add_f16_e32 v8, v32, v8
	v_mul_f16_e32 v41, 0x3770, v47
	v_add_f16_e32 v32, v51, v33
	v_fmamk_f16 v33, v45, 0xbb7b, v53
	v_mul_f16_e32 v51, 0x3b15, v50
	v_fma_f16 v39, v30, 0xb5ac, -v39
	v_add_f16_e32 v22, v52, v22
	v_fmac_f16_e32 v53, 0x3b7b, v45
	v_add_f16_e32 v33, v33, v42
	v_fmamk_f16 v42, v30, 0x3b15, v41
	v_fmamk_f16 v52, v45, 0xb770, v51
	v_add_f16_e32 v34, v39, v34
	v_fma_f16 v39, v30, 0x3b15, -v41
	v_fmac_f16_e32 v51, 0x3770, v45
	v_add_f16_e32 v41, v42, v43
	v_mul_f16_e32 v43, 0xba95, v47
	v_add_f16_e32 v42, v52, v44
	v_mul_f16_e32 v44, 0x388b, v50
	v_add_f16_e32 v21, v39, v21
	v_pk_add_f16 v39, v24, v29 neg_lo:[0,1] neg_hi:[0,1]
	v_fmamk_f16 v47, v30, 0x388b, v43
	v_pk_add_f16 v29, v29, v24
	v_fmamk_f16 v50, v45, 0x3a95, v44
	v_add_f16_e32 v36, v51, v36
	v_pk_mul_f16 v24, 0xbb7b, v39 op_sel_hi:[0,1]
	v_add_f16_e32 v37, v47, v37
	v_lshrrev_b32_e32 v47, 16, v39
	v_add_f16_e32 v46, v50, v46
	v_lshrrev_b32_e32 v52, 16, v29
	v_pk_fma_f16 v50, 0xb5ac, v29, v24 op_sel:[0,0,1] op_sel_hi:[0,1,0]
	v_pk_fma_f16 v51, 0xb5ac, v29, v24 op_sel:[0,0,1] op_sel_hi:[0,1,0] neg_lo:[0,0,1] neg_hi:[0,0,1]
	v_fma_f16 v24, v30, 0x388b, -v43
	v_mul_f16_e32 v43, 0x394e, v47
	v_fmac_f16_e32 v44, 0xba95, v45
	v_add_f16_e32 v35, v53, v35
	v_bfi_b32 v53, 0xffff, v50, v51
	v_add_f16_e32 v7, v24, v7
	v_fmamk_f16 v24, v29, 0xb9fd, v43
	v_mul_f16_e32 v54, 0xb9fd, v52
	v_add_f16_e32 v10, v44, v10
	v_mul_f16_e32 v44, 0x3770, v47
	v_pk_add_f16 v38, v53, v38
	v_add_f16_e32 v23, v24, v23
	v_fmamk_f16 v24, v39, 0xb94e, v54
	v_fma_f16 v43, v29, 0xb9fd, -v43
	v_fmamk_f16 v53, v29, 0x3b15, v44
	v_mul_f16_e32 v55, 0x3b15, v52
	v_fmac_f16_e32 v54, 0x394e, v39
	v_add_f16_e32 v24, v24, v40
	v_add_f16_e32 v8, v43, v8
	;; [unrolled: 1-line block ×3, first 2 shown]
	v_fmamk_f16 v40, v39, 0xb770, v55
	v_mul_f16_e32 v43, 0xbbf1, v47
	v_mul_f16_e32 v53, 0x2fb7, v52
	v_add_f16_e32 v22, v54, v22
	v_fma_f16 v44, v29, 0x3b15, -v44
	v_add_f16_e32 v33, v40, v33
	v_fmamk_f16 v40, v29, 0x2fb7, v43
	v_fmamk_f16 v54, v39, 0x3bf1, v53
	v_fma_f16 v43, v29, 0x2fb7, -v43
	v_fmac_f16_e32 v53, 0xbbf1, v39
	v_add_f16_e32 v34, v44, v34
	v_add_f16_e32 v40, v40, v41
	;; [unrolled: 1-line block ×3, first 2 shown]
	v_mul_f16_e32 v42, 0x33a8, v47
	v_add_f16_e32 v21, v43, v21
	v_pk_add_f16 v43, v25, v28 neg_lo:[0,1] neg_hi:[0,1]
	v_pk_add_f16 v25, v28, v25
	v_mul_f16_e32 v44, 0xbbc4, v52
	v_fmamk_f16 v47, v29, 0xbbc4, v42
	v_add_f16_e32 v36, v53, v36
	v_fma_f16 v42, v29, 0xbbc4, -v42
	v_lshrrev_b32_e32 v54, 16, v25
	v_fmamk_f16 v52, v39, 0xb3a8, v44
	v_add_f16_e32 v37, v47, v37
	v_lshrrev_b32_e32 v47, 16, v43
	v_pk_mul_f16 v28, 0xb94e, v43 op_sel_hi:[0,1]
	v_add_f16_e32 v7, v42, v7
	v_mul_f16_e32 v56, 0x2fb7, v54
	v_fmac_f16_e32 v55, 0x3770, v39
	v_mul_f16_e32 v53, 0x3bf1, v47
	v_add_f16_e32 v46, v52, v46
	v_pk_fma_f16 v52, 0xb9fd, v25, v28 op_sel:[0,0,1] op_sel_hi:[0,1,0]
	v_pk_fma_f16 v28, 0xb9fd, v25, v28 op_sel:[0,0,1] op_sel_hi:[0,1,0] neg_lo:[0,0,1] neg_hi:[0,0,1]
	v_fmac_f16_e32 v44, 0x33a8, v39
	v_fmamk_f16 v42, v25, 0x2fb7, v53
	v_fma_f16 v53, v25, 0x2fb7, -v53
	v_mul_f16_e32 v57, 0x388b, v54
	v_add_f16_e32 v35, v55, v35
	v_bfi_b32 v55, 0xffff, v52, v28
	v_add_f16_e32 v23, v42, v23
	v_fmamk_f16 v42, v43, 0xbbf1, v56
	v_add_f16_e32 v10, v44, v10
	v_mul_f16_e32 v44, 0xba95, v47
	v_add_f16_e32 v8, v53, v8
	v_mul_f16_e32 v53, 0x33a8, v47
	v_add_f16_e32 v24, v42, v24
	v_fmamk_f16 v42, v43, 0x3a95, v57
	v_pk_add_f16 v38, v55, v38
	v_fmamk_f16 v55, v25, 0x388b, v44
	v_fma_f16 v44, v25, 0x388b, -v44
	v_fmac_f16_e32 v56, 0x3bf1, v43
	v_add_f16_e32 v33, v42, v33
	v_fmamk_f16 v42, v25, 0xbbc4, v53
	v_add_f16_e32 v32, v55, v32
	v_mul_f16_e32 v55, 0xbbc4, v54
	v_add_f16_e32 v34, v44, v34
	v_fma_f16 v44, v25, 0xbbc4, -v53
	v_add_f16_e32 v40, v42, v40
	v_mul_f16_e32 v42, 0x3770, v47
	v_mul_f16_e32 v47, 0x3b15, v54
	v_pk_add_f16 v53, v26, v27 neg_lo:[0,1] neg_hi:[0,1]
	v_add_f16_e32 v22, v56, v22
	v_fmamk_f16 v56, v43, 0xb3a8, v55
	v_fmac_f16_e32 v55, 0x33a8, v43
	v_fmamk_f16 v54, v43, 0xb770, v47
	v_pk_add_f16 v26, v27, v26
	v_pk_mul_f16 v27, 0xb3a8, v53 op_sel_hi:[0,1]
	v_fmac_f16_e32 v57, 0xba95, v43
	v_add_f16_e32 v41, v56, v41
	v_add_f16_e32 v44, v44, v21
	v_fmamk_f16 v21, v25, 0x3b15, v42
	v_add_f16_e32 v36, v55, v36
	v_add_f16_e32 v46, v54, v46
	v_lshrrev_b32_e32 v54, 16, v53
	v_pk_fma_f16 v55, 0xbbc4, v26, v27 op_sel:[0,0,1] op_sel_hi:[0,1,0]
	v_pk_fma_f16 v27, 0xbbc4, v26, v27 op_sel:[0,0,1] op_sel_hi:[0,1,0] neg_lo:[0,0,1] neg_hi:[0,0,1]
	v_lshrrev_b32_e32 v56, 16, v26
	v_add_f16_e32 v35, v57, v35
	v_add_f16_e32 v37, v21, v37
	v_fma_f16 v21, v25, 0x3b15, -v42
	v_mul_f16_e32 v42, 0x3770, v54
	v_fmac_f16_e32 v47, 0x3770, v43
	v_bfi_b32 v57, 0xffff, v55, v27
	v_mul_f16_e32 v58, 0x3b15, v56
	v_add_f16_e32 v59, v21, v7
	v_fmamk_f16 v7, v26, 0x3b15, v42
	v_add_f16_e32 v47, v47, v10
	v_pk_add_f16 v38, v57, v38
	v_fmamk_f16 v10, v53, 0xb770, v58
	v_mul_f16_e32 v57, 0xb94e, v54
	v_add_f16_e32 v60, v7, v23
	v_fma_f16 v7, v26, 0x3b15, -v42
	v_fmac_f16_e32 v58, 0x3770, v53
	v_add_f16_e32 v42, v10, v24
	v_fmamk_f16 v10, v26, 0xb9fd, v57
	v_mul_f16_e32 v23, 0xb9fd, v56
	v_add_f16_e32 v8, v7, v8
	v_add_f16_e32 v21, v58, v22
	v_mul_f16_e32 v24, 0x3a95, v54
	v_add_f16_e32 v32, v10, v32
	v_fmamk_f16 v7, v53, 0x394e, v23
	v_fma_f16 v10, v26, 0xb9fd, -v57
	v_fmac_f16_e32 v23, 0xb94e, v53
	v_mul_f16_e32 v58, 0x388b, v56
	v_fmamk_f16 v57, v26, 0x388b, v24
	v_add_f16_e32 v33, v7, v33
	v_add_f16_e32 v7, v10, v34
	;; [unrolled: 1-line block ×3, first 2 shown]
	v_fmamk_f16 v10, v53, 0xba95, v58
	v_fma_f16 v23, v26, 0x388b, -v24
	v_mul_f16_e32 v35, 0xbb7b, v54
	v_add_f16_e32 v34, v57, v40
	v_fmac_f16_e32 v58, 0x3a95, v53
	v_mul_f16_e32 v40, 0xb5ac, v56
	v_add_f16_e32 v41, v10, v41
	v_add_f16_e32 v10, v23, v44
	v_fmamk_f16 v23, v26, 0xb5ac, v35
	v_fma_f16 v35, v26, 0xb5ac, -v35
	v_pk_mul_f16 v44, 0xbbc4, v9 op_sel_hi:[0,1]
	v_add_f16_e32 v24, v58, v36
	v_fmamk_f16 v36, v53, 0x3b7b, v40
	v_fmac_f16_e32 v40, 0xbb7b, v53
	v_add_f16_e32 v9, v35, v59
	v_pk_fma_f16 v35, 0xb3a8, v17, v44 op_sel:[0,0,1] op_sel_hi:[0,1,0]
	v_pk_mul_f16 v31, 0x3b15, v31 op_sel_hi:[0,1]
	v_add_f16_e32 v37, v23, v37
	v_add_f16_e32 v23, v40, v47
	v_pack_b32_f16 v32, v32, v33
	v_alignbit_b32 v40, s0, v35, 16
	v_pk_fma_f16 v17, 0xb3a8, v17, v44 op_sel:[0,0,1] op_sel_hi:[0,1,0] neg_lo:[0,1,0] neg_hi:[0,1,0]
	v_pk_fma_f16 v33, 0x3770, v20, v31 op_sel:[0,0,1] op_sel_hi:[0,1,0]
	v_pk_mul_f16 v30, 0xb9fd, v30 op_sel_hi:[0,1]
	v_add_f16_e32 v36, v36, v46
	v_pk_add_f16 v40, v11, v40
	v_alignbit_b32 v44, s0, v11, 16
	v_pk_add_f16 v17, v11, v17 op_sel:[1,0] op_sel_hi:[0,1]
	v_alignbit_b32 v46, s0, v33, 16
	v_pk_fma_f16 v20, 0x3770, v20, v31 op_sel:[0,0,1] op_sel_hi:[0,1,0] neg_lo:[0,1,0] neg_hi:[0,1,0]
	v_pk_fma_f16 v31, 0xb94e, v45, v30 op_sel:[0,0,1] op_sel_hi:[0,1,0]
	v_pk_mul_f16 v29, 0x388b, v29 op_sel_hi:[0,1]
	v_pk_add_f16 v35, v44, v35
	v_pk_add_f16 v40, v46, v40
	;; [unrolled: 1-line block ×3, first 2 shown]
	v_alignbit_b32 v20, s0, v31, 16
	v_pk_fma_f16 v30, 0xb94e, v45, v30 op_sel:[0,0,1] op_sel_hi:[0,1,0] neg_lo:[0,1,0] neg_hi:[0,1,0]
	v_pk_fma_f16 v44, 0x3a95, v39, v29 op_sel:[0,0,1] op_sel_hi:[0,1,0]
	v_pk_mul_f16 v25, 0xb5ac, v25 op_sel_hi:[0,1]
	v_bfi_b32 v14, 0xffff, v15, v14
	v_pk_add_f16 v33, v33, v35
	v_pk_add_f16 v20, v20, v40
	;; [unrolled: 1-line block ×3, first 2 shown]
	v_alignbit_b32 v30, s0, v44, 16
	v_pk_fma_f16 v35, 0xbb7b, v43, v25 op_sel:[0,0,1] op_sel_hi:[0,1,0]
	v_pk_add_f16 v11, v11, v14
	v_bfi_b32 v14, 0xffff, v18, v16
	v_pk_fma_f16 v29, 0x3a95, v39, v29 op_sel:[0,0,1] op_sel_hi:[0,1,0] neg_lo:[0,1,0] neg_hi:[0,1,0]
	v_pk_add_f16 v31, v31, v33
	v_pk_add_f16 v15, v30, v20
	v_alignbit_b32 v20, s0, v35, 16
	v_pk_mul_f16 v26, 0x2fb7, v26 op_sel_hi:[0,1]
	v_pk_add_f16 v11, v14, v11
	v_bfi_b32 v14, 0xffff, v49, v48
	v_pk_add_f16 v17, v29, v17
	v_pk_add_f16 v16, v44, v31
	v_pk_fma_f16 v18, 0xbb7b, v43, v25 op_sel:[0,0,1] op_sel_hi:[0,1,0] neg_lo:[0,1,0] neg_hi:[0,1,0]
	v_pk_add_f16 v15, v20, v15
	v_pk_fma_f16 v20, 0x3bf1, v53, v26 op_sel:[0,0,1] op_sel_hi:[0,1,0]
	v_pk_add_f16 v11, v14, v11
	v_bfi_b32 v14, 0xffff, v51, v50
	v_pk_add_f16 v17, v18, v17
	v_pk_add_f16 v16, v35, v16
	v_alignbit_b32 v18, s0, v20, 16
	v_pk_fma_f16 v25, 0x3bf1, v53, v26 op_sel:[0,0,1] op_sel_hi:[0,1,0] neg_lo:[0,1,0] neg_hi:[0,1,0]
	v_pk_add_f16 v11, v14, v11
	v_bfi_b32 v14, 0xffff, v28, v52
	v_pk_add_f16 v16, v20, v16
	v_pk_add_f16 v15, v18, v15
	;; [unrolled: 1-line block ×3, first 2 shown]
	v_pack_b32_f16 v26, v60, v42
	v_pk_add_f16 v11, v14, v11
	v_bfi_b32 v14, 0xffff, v27, v55
	v_pack_b32_f16 v18, v37, v36
	v_pack_b32_f16 v20, v34, v41
	v_alignbit_b32 v16, v16, v17, 16
	v_pack_b32_f16 v15, v15, v17
	v_pack_b32_f16 v17, v10, v24
	;; [unrolled: 1-line block ×5, first 2 shown]
	v_pk_add_f16 v11, v14, v11
	ds_store_2addr_b32 v13, v19, v38 offset1:1
	ds_store_2addr_b32 v13, v26, v32 offset0:2 offset1:3
	ds_store_2addr_b32 v13, v20, v18 offset0:4 offset1:5
	;; [unrolled: 1-line block ×5, first 2 shown]
	ds_store_b32 v13, v11 offset:48
	global_wb scope:SCOPE_SE
	s_wait_dscnt 0x0
	s_barrier_signal -1
	s_barrier_wait -1
	global_inv scope:SCOPE_SE
	ds_load_2addr_b32 v[19:20], v4 offset0:13 offset1:26
	ds_load_2addr_b32 v[17:18], v4 offset0:39 offset1:52
	;; [unrolled: 1-line block ×3, first 2 shown]
	ds_load_b32 v29, v12
	ds_load_b32 v30, v4 offset:364
	v_cmp_gt_u32_e64 s0, 5, v3
	v_lshrrev_b32_e32 v25, 16, v11
                                        ; implicit-def: $vgpr26
                                        ; implicit-def: $vgpr28
                                        ; implicit-def: $vgpr13
                                        ; implicit-def: $vgpr27
	s_delay_alu instid0(VALU_DEP_2)
	s_and_saveexec_b32 s1, s0
	s_cbranch_execz .LBB0_23
; %bb.22:
	ds_load_2addr_b32 v[9:10], v4 offset0:8 offset1:21
	ds_load_2addr_b32 v[7:8], v4 offset0:34 offset1:47
	;; [unrolled: 1-line block ×4, first 2 shown]
	s_wait_dscnt 0x3
	v_lshrrev_b32_e32 v23, 16, v9
	s_wait_dscnt 0x2
	v_lshrrev_b32_e32 v22, 16, v7
	v_lshrrev_b32_e32 v21, 16, v8
	s_wait_dscnt 0x1
	v_lshrrev_b32_e32 v25, 16, v11
	;; [unrolled: 3-line block ×3, first 2 shown]
	v_lshrrev_b32_e32 v27, 16, v14
	v_lshrrev_b32_e32 v24, 16, v10
.LBB0_23:
	s_wait_alu 0xfffe
	s_or_b32 exec_lo, exec_lo, s1
	v_mul_u32_u24_e32 v31, 7, v3
	s_wait_dscnt 0x0
	v_lshrrev_b32_e32 v40, 16, v30
	v_lshrrev_b32_e32 v41, 16, v16
	;; [unrolled: 1-line block ×4, first 2 shown]
	v_lshlrev_b32_e32 v31, 2, v31
	v_lshrrev_b32_e32 v44, 16, v17
	v_lshrrev_b32_e32 v45, 16, v20
	;; [unrolled: 1-line block ×4, first 2 shown]
	s_clause 0x1
	global_load_b128 v[32:35], v31, s[8:9]
	global_load_b96 v[36:38], v31, s[8:9] offset:16
	v_or_b32_e32 v31, 8, v3
	global_wb scope:SCOPE_SE
	s_wait_loadcnt 0x0
	s_barrier_signal -1
	s_barrier_wait -1
	global_inv scope:SCOPE_SE
	v_cmp_gt_u32_e64 s1, 13, v31
	v_lshrrev_b32_e32 v47, 16, v32
	v_lshrrev_b32_e32 v48, 16, v33
	;; [unrolled: 1-line block ×7, first 2 shown]
	v_mul_f16_e32 v54, v47, v46
	v_mul_f16_e32 v47, v47, v19
	;; [unrolled: 1-line block ×14, first 2 shown]
	v_fmac_f16_e32 v54, v32, v19
	v_fma_f16 v19, v32, v46, -v47
	v_fmac_f16_e32 v55, v33, v20
	v_fma_f16 v20, v33, v45, -v48
	;; [unrolled: 2-line block ×7, first 2 shown]
	v_sub_f16_e32 v32, v29, v57
	v_sub_f16_e32 v18, v39, v18
	;; [unrolled: 1-line block ×8, first 2 shown]
	v_fma_f16 v29, v29, 2.0, -v32
	v_fma_f16 v36, v39, 2.0, -v18
	;; [unrolled: 1-line block ×8, first 2 shown]
	v_add_f16_e32 v16, v32, v16
	v_sub_f16_e32 v33, v18, v33
	v_add_f16_e32 v30, v34, v30
	v_sub_f16_e32 v35, v15, v35
	v_sub_f16_e32 v37, v29, v37
	;; [unrolled: 1-line block ×3, first 2 shown]
	v_fma_f16 v32, v32, 2.0, -v16
	v_fma_f16 v18, v18, 2.0, -v33
	v_sub_f16_e32 v39, v38, v39
	v_sub_f16_e32 v17, v19, v17
	v_fma_f16 v34, v34, 2.0, -v30
	v_fma_f16 v15, v15, 2.0, -v35
	v_fmamk_f16 v40, v30, 0x39a8, v16
	v_fmamk_f16 v41, v35, 0x39a8, v33
	v_fma_f16 v29, v29, 2.0, -v37
	v_fma_f16 v36, v36, 2.0, -v20
	;; [unrolled: 1-line block ×4, first 2 shown]
	v_fmamk_f16 v42, v34, 0xb9a8, v32
	v_fmamk_f16 v43, v15, 0xb9a8, v18
	v_add_f16_e32 v17, v37, v17
	v_sub_f16_e32 v39, v20, v39
	v_fmac_f16_e32 v40, 0x39a8, v35
	v_fmac_f16_e32 v41, 0xb9a8, v30
	v_sub_f16_e32 v30, v29, v38
	v_sub_f16_e32 v19, v36, v19
	v_fmac_f16_e32 v42, 0x39a8, v15
	v_fmac_f16_e32 v43, 0xb9a8, v34
	v_fma_f16 v15, v37, 2.0, -v17
	v_fma_f16 v20, v20, 2.0, -v39
	;; [unrolled: 1-line block ×8, first 2 shown]
	v_pack_b32_f16 v15, v15, v20
	v_pack_b32_f16 v16, v16, v33
	;; [unrolled: 1-line block ×8, first 2 shown]
	ds_store_2addr_b32 v4, v15, v16 offset0:26 offset1:39
	ds_store_2addr_b32 v4, v19, v20 offset0:52 offset1:65
	ds_store_2addr_b32 v4, v29, v18 offset1:13
	ds_store_2addr_b32 v4, v17, v30 offset0:78 offset1:91
	s_and_saveexec_b32 s4, s0
	s_cbranch_execz .LBB0_25
; %bb.24:
	v_dual_mov_b32 v16, 0 :: v_dual_add_nc_u32 v15, -5, v3
	s_delay_alu instid0(VALU_DEP_1) | instskip(NEXT) | instid1(VALU_DEP_1)
	v_cndmask_b32_e64 v15, v15, v31, s1
	v_mul_i32_i24_e32 v15, 7, v15
	s_delay_alu instid0(VALU_DEP_1) | instskip(NEXT) | instid1(VALU_DEP_1)
	v_lshlrev_b64_e32 v[15:16], 2, v[15:16]
	v_add_co_u32 v19, s0, s8, v15
	s_wait_alu 0xf1ff
	s_delay_alu instid0(VALU_DEP_2)
	v_add_co_ci_u32_e64 v20, s0, s9, v16, s0
	s_clause 0x1
	global_load_b128 v[15:18], v[19:20], off
	global_load_b96 v[29:31], v[19:20], off offset:16
	s_wait_loadcnt 0x1
	v_lshrrev_b32_e32 v19, 16, v15
	v_lshrrev_b32_e32 v20, 16, v16
	;; [unrolled: 1-line block ×4, first 2 shown]
	s_wait_loadcnt 0x0
	v_lshrrev_b32_e32 v34, 16, v30
	v_lshrrev_b32_e32 v35, 16, v29
	;; [unrolled: 1-line block ×3, first 2 shown]
	v_mul_f16_e32 v37, v25, v32
	v_mul_f16_e32 v38, v7, v20
	;; [unrolled: 1-line block ×14, first 2 shown]
	v_fmac_f16_e32 v37, v11, v18
	v_fma_f16 v11, v22, v16, -v38
	v_fma_f16 v22, v28, v30, -v39
	;; [unrolled: 1-line block ×4, first 2 shown]
	v_fmac_f16_e32 v42, v8, v17
	v_fmac_f16_e32 v43, v14, v31
	;; [unrolled: 1-line block ×4, first 2 shown]
	v_fma_f16 v8, v21, v17, -v33
	v_fma_f16 v10, v27, v31, -v36
	;; [unrolled: 1-line block ×3, first 2 shown]
	v_fmac_f16_e32 v20, v7, v16
	v_fmac_f16_e32 v34, v13, v30
	v_sub_f16_e32 v7, v9, v37
	v_sub_f16_e32 v13, v11, v22
	;; [unrolled: 1-line block ×8, first 2 shown]
	v_add_f16_e32 v18, v7, v13
	v_sub_f16_e32 v21, v14, v15
	v_add_f16_e32 v22, v16, v10
	v_fma_f16 v9, v9, 2.0, -v7
	v_sub_f16_e32 v25, v12, v17
	v_fma_f16 v17, v20, 2.0, -v17
	v_fma_f16 v20, v24, 2.0, -v14
	v_fma_f16 v8, v8, 2.0, -v10
	v_fma_f16 v10, v23, 2.0, -v12
	v_fma_f16 v11, v11, 2.0, -v13
	v_fma_f16 v13, v19, 2.0, -v16
	v_fma_f16 v15, v42, 2.0, -v15
	v_fmamk_f16 v19, v22, 0x39a8, v18
	v_sub_f16_e32 v17, v9, v17
	v_sub_f16_e32 v8, v20, v8
	;; [unrolled: 1-line block ×4, first 2 shown]
	v_fma_f16 v7, v7, 2.0, -v18
	v_fma_f16 v14, v14, 2.0, -v21
	;; [unrolled: 1-line block ×4, first 2 shown]
	v_fmamk_f16 v23, v21, 0x39a8, v25
	v_fmac_f16_e32 v19, 0x39a8, v21
	v_add_f16_e32 v21, v17, v8
	v_fmamk_f16 v24, v16, 0xb9a8, v7
	v_fmamk_f16 v26, v14, 0xb9a8, v12
	v_fma_f16 v9, v9, 2.0, -v17
	v_fma_f16 v13, v13, 2.0, -v15
	;; [unrolled: 1-line block ×4, first 2 shown]
	v_fmac_f16_e32 v23, 0xb9a8, v22
	v_sub_f16_e32 v22, v11, v15
	v_fmac_f16_e32 v24, 0x39a8, v14
	v_fmac_f16_e32 v26, 0xb9a8, v16
	v_sub_f16_e32 v13, v9, v13
	v_sub_f16_e32 v8, v10, v8
	v_fma_f16 v15, v18, 2.0, -v19
	v_fma_f16 v18, v25, 2.0, -v23
	;; [unrolled: 1-line block ×8, first 2 shown]
	v_pack_b32_f16 v11, v14, v11
	v_pack_b32_f16 v14, v15, v18
	;; [unrolled: 1-line block ×8, first 2 shown]
	ds_store_2addr_b32 v4, v11, v14 offset0:34 offset1:47
	ds_store_2addr_b32 v4, v8, v13 offset0:60 offset1:73
	;; [unrolled: 1-line block ×4, first 2 shown]
.LBB0_25:
	s_wait_alu 0xfffe
	s_or_b32 exec_lo, exec_lo, s4
	global_wb scope:SCOPE_SE
	s_wait_dscnt 0x0
	s_barrier_signal -1
	s_barrier_wait -1
	global_inv scope:SCOPE_SE
	s_and_saveexec_b32 s0, vcc_lo
	s_cbranch_execz .LBB0_27
; %bb.26:
	v_mul_lo_u32 v7, s3, v5
	v_mul_lo_u32 v8, s2, v6
	v_mad_co_u64_u32 v[5:6], null, s2, v5, 0
	v_mov_b32_e32 v4, 0
	v_lshl_add_u32 v30, v3, 2, v0
	v_lshlrev_b64_e32 v[0:1], 2, v[1:2]
	v_add_nc_u32_e32 v28, 64, v3
	v_add3_u32 v6, v6, v8, v7
	v_add_nc_u32_e32 v7, 8, v3
	v_dual_mov_b32 v8, v4 :: v_dual_add_nc_u32 v9, 16, v3
	v_lshlrev_b64_e32 v[12:13], 2, v[3:4]
	s_delay_alu instid0(VALU_DEP_4)
	v_lshlrev_b64_e32 v[5:6], 2, v[5:6]
	v_dual_mov_b32 v10, v4 :: v_dual_add_nc_u32 v11, 24, v3
	ds_load_2addr_b32 v[14:15], v30 offset1:8
	v_dual_mov_b32 v23, v4 :: v_dual_add_nc_u32 v20, 40, v3
	v_add_co_u32 v2, vcc_lo, s6, v5
	s_wait_alu 0xfffd
	v_add_co_ci_u32_e32 v16, vcc_lo, s7, v6, vcc_lo
	v_lshlrev_b64_e32 v[5:6], 2, v[7:8]
	s_delay_alu instid0(VALU_DEP_3) | instskip(SKIP_1) | instid1(VALU_DEP_3)
	v_add_co_u32 v31, vcc_lo, v2, v0
	s_wait_alu 0xfffd
	v_add_co_ci_u32_e32 v32, vcc_lo, v16, v1, vcc_lo
	v_lshlrev_b64_e32 v[0:1], 2, v[9:10]
	s_delay_alu instid0(VALU_DEP_3)
	v_add_co_u32 v7, vcc_lo, v31, v12
	v_dual_mov_b32 v12, v4 :: v_dual_mov_b32 v17, v4
	v_dual_mov_b32 v21, v4 :: v_dual_add_nc_u32 v16, 32, v3
	s_wait_alu 0xfffd
	v_add_co_ci_u32_e32 v8, vcc_lo, v32, v13, vcc_lo
	v_add_co_u32 v5, vcc_lo, v31, v5
	v_lshlrev_b64_e32 v[11:12], 2, v[11:12]
	s_wait_alu 0xfffd
	v_add_co_ci_u32_e32 v6, vcc_lo, v32, v6, vcc_lo
	ds_load_2addr_b32 v[9:10], v30 offset0:16 offset1:24
	v_add_co_u32 v0, vcc_lo, v31, v0
	v_lshlrev_b64_e32 v[16:17], 2, v[16:17]
	ds_load_2addr_b32 v[18:19], v30 offset0:32 offset1:40
	v_dual_mov_b32 v27, v4 :: v_dual_add_nc_u32 v22, 48, v3
	s_wait_alu 0xfffd
	v_add_co_ci_u32_e32 v1, vcc_lo, v32, v1, vcc_lo
	v_add_co_u32 v11, vcc_lo, v31, v11
	v_lshlrev_b64_e32 v[20:21], 2, v[20:21]
	ds_load_2addr_b32 v[24:25], v30 offset0:48 offset1:56
	v_dual_mov_b32 v29, v4 :: v_dual_add_nc_u32 v26, 56, v3
	s_wait_alu 0xfffd
	v_add_co_ci_u32_e32 v12, vcc_lo, v32, v12, vcc_lo
	v_add_co_u32 v16, vcc_lo, v31, v16
	v_lshlrev_b64_e32 v[22:23], 2, v[22:23]
	s_wait_alu 0xfffd
	v_add_co_ci_u32_e32 v17, vcc_lo, v32, v17, vcc_lo
	v_add_co_u32 v20, vcc_lo, v31, v20
	v_lshlrev_b64_e32 v[26:27], 2, v[26:27]
	s_wait_alu 0xfffd
	v_add_co_ci_u32_e32 v21, vcc_lo, v32, v21, vcc_lo
	v_add_co_u32 v22, vcc_lo, v31, v22
	s_wait_alu 0xfffd
	v_add_co_ci_u32_e32 v23, vcc_lo, v32, v23, vcc_lo
	v_add_co_u32 v26, vcc_lo, v31, v26
	s_wait_alu 0xfffd
	v_add_co_ci_u32_e32 v27, vcc_lo, v32, v27, vcc_lo
	s_wait_dscnt 0x3
	s_clause 0x1
	global_store_b32 v[7:8], v14, off
	global_store_b32 v[5:6], v15, off
	s_wait_dscnt 0x2
	s_clause 0x1
	global_store_b32 v[0:1], v9, off
	global_store_b32 v[11:12], v10, off
	;; [unrolled: 4-line block ×4, first 2 shown]
	v_dual_mov_b32 v8, v4 :: v_dual_add_nc_u32 v7, 0x48, v3
	v_lshlrev_b64_e32 v[5:6], 2, v[28:29]
	ds_load_2addr_b32 v[0:1], v30 offset0:64 offset1:72
	v_dual_mov_b32 v10, v4 :: v_dual_add_nc_u32 v9, 0x50, v3
	v_lshlrev_b64_e32 v[7:8], 2, v[7:8]
	ds_load_2addr_b32 v[11:12], v30 offset0:80 offset1:88
	v_dual_mov_b32 v14, v4 :: v_dual_add_nc_u32 v13, 0x58, v3
	ds_load_b32 v15, v30 offset:384
	v_add_co_u32 v5, vcc_lo, v31, v5
	v_lshlrev_b64_e32 v[9:10], 2, v[9:10]
	v_add_nc_u32_e32 v3, 0x60, v3
	s_wait_alu 0xfffd
	v_add_co_ci_u32_e32 v6, vcc_lo, v32, v6, vcc_lo
	v_add_co_u32 v7, vcc_lo, v31, v7
	v_lshlrev_b64_e32 v[13:14], 2, v[13:14]
	s_wait_alu 0xfffd
	v_add_co_ci_u32_e32 v8, vcc_lo, v32, v8, vcc_lo
	v_add_co_u32 v9, vcc_lo, v31, v9
	v_lshlrev_b64_e32 v[2:3], 2, v[3:4]
	s_wait_alu 0xfffd
	v_add_co_ci_u32_e32 v10, vcc_lo, v32, v10, vcc_lo
	v_add_co_u32 v13, vcc_lo, v31, v13
	s_wait_alu 0xfffd
	v_add_co_ci_u32_e32 v14, vcc_lo, v32, v14, vcc_lo
	v_add_co_u32 v2, vcc_lo, v31, v2
	s_wait_alu 0xfffd
	v_add_co_ci_u32_e32 v3, vcc_lo, v32, v3, vcc_lo
	s_wait_dscnt 0x2
	s_clause 0x1
	global_store_b32 v[5:6], v0, off
	global_store_b32 v[7:8], v1, off
	s_wait_dscnt 0x1
	s_clause 0x1
	global_store_b32 v[9:10], v11, off
	global_store_b32 v[13:14], v12, off
	s_wait_dscnt 0x0
	global_store_b32 v[2:3], v15, off
.LBB0_27:
	s_nop 0
	s_sendmsg sendmsg(MSG_DEALLOC_VGPRS)
	s_endpgm
	.section	.rodata,"a",@progbits
	.p2align	6, 0x0
	.amdhsa_kernel fft_rtc_back_len104_factors_13_8_wgs_64_tpt_8_halfLds_half_op_CI_CI_unitstride_sbrr_C2R_dirReg
		.amdhsa_group_segment_fixed_size 0
		.amdhsa_private_segment_fixed_size 0
		.amdhsa_kernarg_size 104
		.amdhsa_user_sgpr_count 2
		.amdhsa_user_sgpr_dispatch_ptr 0
		.amdhsa_user_sgpr_queue_ptr 0
		.amdhsa_user_sgpr_kernarg_segment_ptr 1
		.amdhsa_user_sgpr_dispatch_id 0
		.amdhsa_user_sgpr_private_segment_size 0
		.amdhsa_wavefront_size32 1
		.amdhsa_uses_dynamic_stack 0
		.amdhsa_enable_private_segment 0
		.amdhsa_system_sgpr_workgroup_id_x 1
		.amdhsa_system_sgpr_workgroup_id_y 0
		.amdhsa_system_sgpr_workgroup_id_z 0
		.amdhsa_system_sgpr_workgroup_info 0
		.amdhsa_system_vgpr_workitem_id 0
		.amdhsa_next_free_vgpr 61
		.amdhsa_next_free_sgpr 39
		.amdhsa_reserve_vcc 1
		.amdhsa_float_round_mode_32 0
		.amdhsa_float_round_mode_16_64 0
		.amdhsa_float_denorm_mode_32 3
		.amdhsa_float_denorm_mode_16_64 3
		.amdhsa_fp16_overflow 0
		.amdhsa_workgroup_processor_mode 1
		.amdhsa_memory_ordered 1
		.amdhsa_forward_progress 0
		.amdhsa_round_robin_scheduling 0
		.amdhsa_exception_fp_ieee_invalid_op 0
		.amdhsa_exception_fp_denorm_src 0
		.amdhsa_exception_fp_ieee_div_zero 0
		.amdhsa_exception_fp_ieee_overflow 0
		.amdhsa_exception_fp_ieee_underflow 0
		.amdhsa_exception_fp_ieee_inexact 0
		.amdhsa_exception_int_div_zero 0
	.end_amdhsa_kernel
	.text
.Lfunc_end0:
	.size	fft_rtc_back_len104_factors_13_8_wgs_64_tpt_8_halfLds_half_op_CI_CI_unitstride_sbrr_C2R_dirReg, .Lfunc_end0-fft_rtc_back_len104_factors_13_8_wgs_64_tpt_8_halfLds_half_op_CI_CI_unitstride_sbrr_C2R_dirReg
                                        ; -- End function
	.section	.AMDGPU.csdata,"",@progbits
; Kernel info:
; codeLenInByte = 8700
; NumSgprs: 41
; NumVgprs: 61
; ScratchSize: 0
; MemoryBound: 0
; FloatMode: 240
; IeeeMode: 1
; LDSByteSize: 0 bytes/workgroup (compile time only)
; SGPRBlocks: 5
; VGPRBlocks: 7
; NumSGPRsForWavesPerEU: 41
; NumVGPRsForWavesPerEU: 61
; Occupancy: 16
; WaveLimiterHint : 1
; COMPUTE_PGM_RSRC2:SCRATCH_EN: 0
; COMPUTE_PGM_RSRC2:USER_SGPR: 2
; COMPUTE_PGM_RSRC2:TRAP_HANDLER: 0
; COMPUTE_PGM_RSRC2:TGID_X_EN: 1
; COMPUTE_PGM_RSRC2:TGID_Y_EN: 0
; COMPUTE_PGM_RSRC2:TGID_Z_EN: 0
; COMPUTE_PGM_RSRC2:TIDIG_COMP_CNT: 0
	.text
	.p2alignl 7, 3214868480
	.fill 96, 4, 3214868480
	.type	__hip_cuid_3418ddc4a50600a7,@object ; @__hip_cuid_3418ddc4a50600a7
	.section	.bss,"aw",@nobits
	.globl	__hip_cuid_3418ddc4a50600a7
__hip_cuid_3418ddc4a50600a7:
	.byte	0                               ; 0x0
	.size	__hip_cuid_3418ddc4a50600a7, 1

	.ident	"AMD clang version 19.0.0git (https://github.com/RadeonOpenCompute/llvm-project roc-6.4.0 25133 c7fe45cf4b819c5991fe208aaa96edf142730f1d)"
	.section	".note.GNU-stack","",@progbits
	.addrsig
	.addrsig_sym __hip_cuid_3418ddc4a50600a7
	.amdgpu_metadata
---
amdhsa.kernels:
  - .args:
      - .actual_access:  read_only
        .address_space:  global
        .offset:         0
        .size:           8
        .value_kind:     global_buffer
      - .offset:         8
        .size:           8
        .value_kind:     by_value
      - .actual_access:  read_only
        .address_space:  global
        .offset:         16
        .size:           8
        .value_kind:     global_buffer
      - .actual_access:  read_only
        .address_space:  global
        .offset:         24
        .size:           8
        .value_kind:     global_buffer
      - .actual_access:  read_only
        .address_space:  global
        .offset:         32
        .size:           8
        .value_kind:     global_buffer
      - .offset:         40
        .size:           8
        .value_kind:     by_value
      - .actual_access:  read_only
        .address_space:  global
        .offset:         48
        .size:           8
        .value_kind:     global_buffer
      - .actual_access:  read_only
        .address_space:  global
        .offset:         56
        .size:           8
        .value_kind:     global_buffer
      - .offset:         64
        .size:           4
        .value_kind:     by_value
      - .actual_access:  read_only
        .address_space:  global
        .offset:         72
        .size:           8
        .value_kind:     global_buffer
      - .actual_access:  read_only
        .address_space:  global
        .offset:         80
        .size:           8
        .value_kind:     global_buffer
      - .actual_access:  read_only
        .address_space:  global
        .offset:         88
        .size:           8
        .value_kind:     global_buffer
      - .actual_access:  write_only
        .address_space:  global
        .offset:         96
        .size:           8
        .value_kind:     global_buffer
    .group_segment_fixed_size: 0
    .kernarg_segment_align: 8
    .kernarg_segment_size: 104
    .language:       OpenCL C
    .language_version:
      - 2
      - 0
    .max_flat_workgroup_size: 64
    .name:           fft_rtc_back_len104_factors_13_8_wgs_64_tpt_8_halfLds_half_op_CI_CI_unitstride_sbrr_C2R_dirReg
    .private_segment_fixed_size: 0
    .sgpr_count:     41
    .sgpr_spill_count: 0
    .symbol:         fft_rtc_back_len104_factors_13_8_wgs_64_tpt_8_halfLds_half_op_CI_CI_unitstride_sbrr_C2R_dirReg.kd
    .uniform_work_group_size: 1
    .uses_dynamic_stack: false
    .vgpr_count:     61
    .vgpr_spill_count: 0
    .wavefront_size: 32
    .workgroup_processor_mode: 1
amdhsa.target:   amdgcn-amd-amdhsa--gfx1201
amdhsa.version:
  - 1
  - 2
...

	.end_amdgpu_metadata
